;; amdgpu-corpus repo=ROCm/rocFFT kind=compiled arch=gfx90a opt=O3
	.text
	.amdgcn_target "amdgcn-amd-amdhsa--gfx90a"
	.amdhsa_code_object_version 6
	.protected	fft_rtc_back_len125_factors_5_5_5_wgs_400_tpt_25_dp_ip_CI_sbcc_twdbase6_3step_dirReg_intrinsicReadWrite ; -- Begin function fft_rtc_back_len125_factors_5_5_5_wgs_400_tpt_25_dp_ip_CI_sbcc_twdbase6_3step_dirReg_intrinsicReadWrite
	.globl	fft_rtc_back_len125_factors_5_5_5_wgs_400_tpt_25_dp_ip_CI_sbcc_twdbase6_3step_dirReg_intrinsicReadWrite
	.p2align	8
	.type	fft_rtc_back_len125_factors_5_5_5_wgs_400_tpt_25_dp_ip_CI_sbcc_twdbase6_3step_dirReg_intrinsicReadWrite,@function
fft_rtc_back_len125_factors_5_5_5_wgs_400_tpt_25_dp_ip_CI_sbcc_twdbase6_3step_dirReg_intrinsicReadWrite: ; @fft_rtc_back_len125_factors_5_5_5_wgs_400_tpt_25_dp_ip_CI_sbcc_twdbase6_3step_dirReg_intrinsicReadWrite
; %bb.0:
	s_load_dwordx8 s[8:15], s[4:5], 0x8
	s_movk_i32 s0, 0xc0
	v_cmp_gt_u32_e32 vcc, s0, v0
	s_and_saveexec_b64 s[0:1], vcc
	s_cbranch_execz .LBB0_2
; %bb.1:
	v_lshlrev_b32_e32 v1, 4, v0
	s_waitcnt lgkmcnt(0)
	global_load_dwordx4 v[2:5], v1, s[8:9]
	v_add_u32_e32 v1, 0, v1
	v_add_u32_e32 v1, 0x7d00, v1
	s_waitcnt vmcnt(0)
	ds_write2_b64 v1, v[2:3], v[4:5] offset1:1
.LBB0_2:
	s_or_b64 exec, exec, s[0:1]
	s_waitcnt lgkmcnt(0)
	s_load_dwordx2 s[20:21], s[12:13], 0x8
	s_mov_b32 s7, 0
	s_mov_b64 s[24:25], 0
	s_waitcnt lgkmcnt(0)
	s_add_u32 s0, s20, -1
	s_addc_u32 s1, s21, -1
	s_lshr_b64 s[0:1], s[0:1], 4
	s_add_u32 s22, s0, 1
	s_addc_u32 s23, s1, 0
	v_pk_mov_b32 v[2:3], s[22:23], s[22:23] op_sel:[0,1]
	v_cmp_lt_u64_e32 vcc, s[6:7], v[2:3]
	s_cbranch_vccnz .LBB0_4
; %bb.3:
	v_cvt_f32_u32_e32 v1, s22
	s_sub_i32 s0, 0, s22
	s_mov_b32 s25, s7
	v_rcp_iflag_f32_e32 v1, v1
	v_mul_f32_e32 v1, 0x4f7ffffe, v1
	v_cvt_u32_f32_e32 v1, v1
	v_readfirstlane_b32 s1, v1
	s_mul_i32 s0, s0, s1
	s_mul_hi_u32 s0, s1, s0
	s_add_i32 s1, s1, s0
	s_mul_hi_u32 s0, s6, s1
	s_mul_i32 s2, s0, s22
	s_sub_i32 s2, s6, s2
	s_add_i32 s1, s0, 1
	s_sub_i32 s3, s2, s22
	s_cmp_ge_u32 s2, s22
	s_cselect_b32 s0, s1, s0
	s_cselect_b32 s2, s3, s2
	s_add_i32 s1, s0, 1
	s_cmp_ge_u32 s2, s22
	s_cselect_b32 s24, s1, s0
.LBB0_4:
	s_load_dwordx2 s[8:9], s[4:5], 0x58
	s_load_dwordx2 s[2:3], s[4:5], 0x0
	s_load_dwordx4 s[16:19], s[14:15], 0x0
	s_mul_i32 s0, s24, s23
	s_mul_hi_u32 s1, s24, s22
	s_add_i32 s1, s1, s0
	s_mul_i32 s0, s24, s22
	s_sub_u32 s0, s6, s0
	s_subb_u32 s1, 0, s1
	v_mov_b32_e32 v1, s0
	s_lshl_b64 s[4:5], s[0:1], 4
	v_alignbit_b32 v1, s1, v1, 28
	s_waitcnt lgkmcnt(0)
	v_mul_lo_u32 v1, s18, v1
	s_mul_hi_u32 s0, s18, s4
	v_add_u32_e32 v1, s0, v1
	s_mul_i32 s0, s19, s4
	v_add_u32_e32 v1, s0, v1
	s_mul_i32 s0, s18, s4
	v_mov_b32_e32 v2, s0
	v_cmp_lt_u64_e64 s[0:1], s[10:11], 3
	s_and_b64 vcc, exec, s[0:1]
	s_cbranch_vccnz .LBB0_13
; %bb.5:
	s_add_u32 s26, s14, 16
	s_addc_u32 s27, s15, 0
	s_add_u32 s12, s12, 16
	s_addc_u32 s13, s13, 0
	s_mov_b64 s[28:29], 2
	s_mov_b32 s30, 0
	v_pk_mov_b32 v[4:5], s[10:11], s[10:11] op_sel:[0,1]
	s_branch .LBB0_7
.LBB0_6:                                ;   in Loop: Header=BB0_7 Depth=1
	s_mul_i32 s17, s34, s23
	s_mul_hi_u32 s19, s34, s22
	s_add_i32 s17, s19, s17
	s_mul_i32 s19, s35, s22
	s_add_i32 s23, s17, s19
	s_mul_i32 s17, s0, s35
	s_mul_hi_u32 s19, s0, s34
	s_load_dwordx2 s[36:37], s[26:27], 0x0
	s_add_i32 s17, s19, s17
	s_mul_i32 s19, s1, s34
	s_add_i32 s17, s17, s19
	s_mul_i32 s19, s0, s34
	s_sub_u32 s19, s24, s19
	s_subb_u32 s17, s25, s17
	s_waitcnt lgkmcnt(0)
	s_mul_i32 s17, s36, s17
	s_mul_hi_u32 s24, s36, s19
	s_add_i32 s17, s24, s17
	s_mul_i32 s24, s37, s19
	s_add_i32 s17, s17, s24
	s_add_u32 s28, s28, 1
	s_mul_i32 s19, s36, s19
	s_addc_u32 s29, s29, 0
	v_mov_b32_e32 v3, s17
	v_add_co_u32_e32 v2, vcc, s19, v2
	s_add_u32 s26, s26, 8
	v_addc_co_u32_e32 v1, vcc, v3, v1, vcc
	s_addc_u32 s27, s27, 0
	s_add_u32 s12, s12, 8
	v_cmp_ge_u64_e32 vcc, s[28:29], v[4:5]
	s_mul_i32 s22, s34, s22
	s_addc_u32 s13, s13, 0
	s_mov_b64 s[24:25], s[0:1]
	s_cbranch_vccnz .LBB0_11
.LBB0_7:                                ; =>This Inner Loop Header: Depth=1
	s_load_dwordx2 s[34:35], s[12:13], 0x0
	s_waitcnt lgkmcnt(0)
	s_or_b64 s[0:1], s[24:25], s[34:35]
	s_mov_b32 s31, s1
	s_cmp_lg_u64 s[30:31], 0
	s_cbranch_scc0 .LBB0_9
; %bb.8:                                ;   in Loop: Header=BB0_7 Depth=1
	v_cvt_f32_u32_e32 v3, s34
	v_cvt_f32_u32_e32 v6, s35
	s_sub_u32 s0, 0, s34
	s_subb_u32 s1, 0, s35
	v_mac_f32_e32 v3, 0x4f800000, v6
	v_rcp_f32_e32 v3, v3
	v_mul_f32_e32 v3, 0x5f7ffffc, v3
	v_mul_f32_e32 v6, 0x2f800000, v3
	v_trunc_f32_e32 v6, v6
	v_mac_f32_e32 v3, 0xcf800000, v6
	v_cvt_u32_f32_e32 v6, v6
	v_cvt_u32_f32_e32 v3, v3
	v_readfirstlane_b32 s17, v6
	v_readfirstlane_b32 s19, v3
	s_mul_i32 s31, s0, s17
	s_mul_hi_u32 s36, s0, s19
	s_mul_i32 s33, s1, s19
	s_add_i32 s31, s36, s31
	s_mul_i32 s37, s0, s19
	s_add_i32 s31, s31, s33
	s_mul_hi_u32 s33, s19, s31
	s_mul_i32 s36, s19, s31
	s_mul_hi_u32 s19, s19, s37
	s_add_u32 s19, s19, s36
	s_addc_u32 s33, 0, s33
	s_mul_hi_u32 s38, s17, s37
	s_mul_i32 s37, s17, s37
	s_add_u32 s19, s19, s37
	s_mul_hi_u32 s36, s17, s31
	s_addc_u32 s19, s33, s38
	s_addc_u32 s33, s36, 0
	s_mul_i32 s31, s17, s31
	s_add_u32 s19, s19, s31
	s_addc_u32 s31, 0, s33
	v_add_co_u32_e32 v3, vcc, s19, v3
	s_cmp_lg_u64 vcc, 0
	s_addc_u32 s17, s17, s31
	v_readfirstlane_b32 s31, v3
	s_mul_i32 s19, s0, s17
	s_mul_hi_u32 s33, s0, s31
	s_add_i32 s19, s33, s19
	s_mul_i32 s1, s1, s31
	s_add_i32 s19, s19, s1
	s_mul_i32 s0, s0, s31
	s_mul_hi_u32 s33, s17, s0
	s_mul_i32 s36, s17, s0
	s_mul_i32 s38, s31, s19
	s_mul_hi_u32 s0, s31, s0
	s_mul_hi_u32 s37, s31, s19
	s_add_u32 s0, s0, s38
	s_addc_u32 s31, 0, s37
	s_add_u32 s0, s0, s36
	s_mul_hi_u32 s1, s17, s19
	s_addc_u32 s0, s31, s33
	s_addc_u32 s1, s1, 0
	s_mul_i32 s19, s17, s19
	s_add_u32 s0, s0, s19
	s_addc_u32 s1, 0, s1
	v_add_co_u32_e32 v3, vcc, s0, v3
	s_cmp_lg_u64 vcc, 0
	s_addc_u32 s0, s17, s1
	v_readfirstlane_b32 s19, v3
	s_mul_i32 s17, s24, s0
	s_mul_hi_u32 s31, s24, s19
	s_mul_hi_u32 s1, s24, s0
	s_add_u32 s17, s31, s17
	s_addc_u32 s1, 0, s1
	s_mul_hi_u32 s33, s25, s19
	s_mul_i32 s19, s25, s19
	s_add_u32 s17, s17, s19
	s_mul_hi_u32 s31, s25, s0
	s_addc_u32 s1, s1, s33
	s_addc_u32 s17, s31, 0
	s_mul_i32 s0, s25, s0
	s_add_u32 s19, s1, s0
	s_addc_u32 s17, 0, s17
	s_mul_i32 s0, s34, s17
	s_mul_hi_u32 s1, s34, s19
	s_add_i32 s0, s1, s0
	s_mul_i32 s1, s35, s19
	s_add_i32 s31, s0, s1
	s_mul_i32 s1, s34, s19
	v_mov_b32_e32 v3, s1
	s_sub_i32 s0, s25, s31
	v_sub_co_u32_e32 v3, vcc, s24, v3
	s_cmp_lg_u64 vcc, 0
	s_subb_u32 s33, s0, s35
	v_subrev_co_u32_e64 v6, s[0:1], s34, v3
	s_cmp_lg_u64 s[0:1], 0
	s_subb_u32 s0, s33, 0
	s_cmp_ge_u32 s0, s35
	v_readfirstlane_b32 s33, v6
	s_cselect_b32 s1, -1, 0
	s_cmp_ge_u32 s33, s34
	s_cselect_b32 s33, -1, 0
	s_cmp_eq_u32 s0, s35
	s_cselect_b32 s0, s33, s1
	s_add_u32 s1, s19, 1
	s_addc_u32 s33, s17, 0
	s_add_u32 s36, s19, 2
	s_addc_u32 s37, s17, 0
	s_cmp_lg_u32 s0, 0
	s_cselect_b32 s0, s36, s1
	s_cselect_b32 s1, s37, s33
	s_cmp_lg_u64 vcc, 0
	s_subb_u32 s31, s25, s31
	s_cmp_ge_u32 s31, s35
	v_readfirstlane_b32 s36, v3
	s_cselect_b32 s33, -1, 0
	s_cmp_ge_u32 s36, s34
	s_cselect_b32 s36, -1, 0
	s_cmp_eq_u32 s31, s35
	s_cselect_b32 s31, s36, s33
	s_cmp_lg_u32 s31, 0
	s_cselect_b32 s1, s1, s17
	s_cselect_b32 s0, s0, s19
	s_cbranch_execnz .LBB0_6
	s_branch .LBB0_10
.LBB0_9:                                ;   in Loop: Header=BB0_7 Depth=1
                                        ; implicit-def: $sgpr0_sgpr1
.LBB0_10:                               ;   in Loop: Header=BB0_7 Depth=1
	v_cvt_f32_u32_e32 v3, s34
	s_sub_i32 s0, 0, s34
	v_rcp_iflag_f32_e32 v3, v3
	v_mul_f32_e32 v3, 0x4f7ffffe, v3
	v_cvt_u32_f32_e32 v3, v3
	v_readfirstlane_b32 s1, v3
	s_mul_i32 s0, s0, s1
	s_mul_hi_u32 s0, s1, s0
	s_add_i32 s1, s1, s0
	s_mul_hi_u32 s0, s24, s1
	s_mul_i32 s17, s0, s34
	s_sub_i32 s17, s24, s17
	s_add_i32 s1, s0, 1
	s_sub_i32 s19, s17, s34
	s_cmp_ge_u32 s17, s34
	s_cselect_b32 s0, s1, s0
	s_cselect_b32 s17, s19, s17
	s_add_i32 s1, s0, 1
	s_cmp_ge_u32 s17, s34
	s_cselect_b32 s0, s1, s0
	s_mov_b32 s1, s30
	s_branch .LBB0_6
.LBB0_11:
	v_pk_mov_b32 v[4:5], s[22:23], s[22:23] op_sel:[0,1]
	v_cmp_lt_u64_e32 vcc, s[6:7], v[4:5]
	s_mov_b64 s[24:25], 0
	s_cbranch_vccnz .LBB0_13
; %bb.12:
	v_cvt_f32_u32_e32 v1, s22
	s_sub_i32 s0, 0, s22
	v_rcp_iflag_f32_e32 v1, v1
	v_mul_f32_e32 v1, 0x4f7ffffe, v1
	v_cvt_u32_f32_e32 v1, v1
	v_readfirstlane_b32 s1, v1
	s_mul_i32 s0, s0, s1
	s_mul_hi_u32 s0, s1, s0
	s_add_i32 s1, s1, s0
	s_mul_hi_u32 s0, s6, s1
	s_mul_i32 s7, s0, s22
	s_sub_i32 s6, s6, s7
	s_add_i32 s1, s0, 1
	s_sub_i32 s7, s6, s22
	s_cmp_ge_u32 s6, s22
	s_cselect_b32 s0, s1, s0
	s_cselect_b32 s6, s7, s6
	s_add_i32 s1, s0, 1
	s_cmp_ge_u32 s6, s22
	s_cselect_b32 s24, s1, s0
.LBB0_13:
	s_lshl_b64 s[0:1], s[10:11], 3
	s_add_u32 s0, s14, s0
	s_addc_u32 s1, s15, s1
	s_load_dword s1, s[0:1], 0x0
	s_add_u32 s0, s4, 16
	v_and_b32_e32 v56, 15, v0
	v_mov_b32_e32 v7, s5
	v_or_b32_e32 v6, s4, v56
	s_waitcnt lgkmcnt(0)
	s_mul_i32 s1, s1, s24
	v_add_u32_e32 v4, s1, v2
	s_addc_u32 s1, s5, 0
	v_pk_mov_b32 v[2:3], s[20:21], s[20:21] op_sel:[0,1]
	v_cmp_le_u64_e32 vcc, s[0:1], v[2:3]
	v_lshrrev_b32_e32 v2, 4, v0
	v_lshlrev_b32_e32 v4, 4, v4
	v_mul_lo_u32 v1, s18, v56
	v_mul_lo_u32 v3, s16, v2
	v_cmp_gt_u64_e64 s[0:1], s[20:21], v[6:7]
	v_readfirstlane_b32 s17, v4
	v_add_u32_e32 v4, 25, v2
	v_add_lshl_u32 v3, v1, v3, 4
	s_or_b64 vcc, vcc, s[0:1]
	v_mul_lo_u32 v4, s16, v4
	v_cndmask_b32_e32 v3, -1, v3, vcc
	s_mov_b32 s11, 0x20000
	s_mov_b32 s10, -2
	v_add_lshl_u32 v4, v1, v4, 4
	v_cndmask_b32_e32 v4, -1, v4, vcc
	buffer_load_dwordx4 v[8:11], v3, s[8:11], s17 offen
	buffer_load_dwordx4 v[12:15], v4, s[8:11], s17 offen
	v_add_u32_e32 v3, 50, v2
	v_mul_lo_u32 v3, s16, v3
	v_add_u32_e32 v4, 0x4b, v2
	v_add_lshl_u32 v3, v1, v3, 4
	v_mul_lo_u32 v4, s16, v4
	v_cndmask_b32_e32 v3, -1, v3, vcc
	v_add_lshl_u32 v4, v1, v4, 4
	v_cndmask_b32_e32 v4, -1, v4, vcc
	buffer_load_dwordx4 v[16:19], v3, s[8:11], s17 offen
	buffer_load_dwordx4 v[20:23], v4, s[8:11], s17 offen
	v_add_u32_e32 v3, 0x64, v2
	v_mul_lo_u32 v3, s16, v3
	v_add_lshl_u32 v3, v1, v3, 4
	v_cndmask_b32_e32 v3, -1, v3, vcc
	buffer_load_dwordx4 v[24:27], v3, s[8:11], s17 offen
	s_mov_b32 s12, 0x134454ff
	s_mov_b32 s13, 0xbfee6f0e
	;; [unrolled: 1-line block ×11, first 2 shown]
	v_mul_u32_u24_e32 v3, 0x500, v2
	v_lshlrev_b32_e32 v7, 4, v56
	v_add3_u32 v3, 0, v3, v7
	s_waitcnt vmcnt(3)
	v_add_f64 v[4:5], v[8:9], v[12:13]
	v_add_f64 v[44:45], v[10:11], v[14:15]
	s_waitcnt vmcnt(2)
	v_add_f64 v[4:5], v[4:5], v[16:17]
	s_waitcnt vmcnt(1)
	v_add_f64 v[28:29], v[16:17], v[20:21]
	v_add_f64 v[36:37], v[16:17], -v[12:13]
	v_add_f64 v[4:5], v[4:5], v[20:21]
	v_add_f64 v[42:43], v[18:19], -v[22:23]
	v_add_f64 v[30:31], v[12:13], -v[16:17]
	s_waitcnt vmcnt(0)
	v_add_f64 v[34:35], v[12:13], v[24:25]
	v_add_f64 v[40:41], v[20:21], -v[24:25]
	v_add_f64 v[32:33], v[24:25], -v[20:21]
	v_add_f64 v[46:47], v[18:19], v[22:23]
	v_fma_f64 v[28:29], -0.5, v[28:29], v[8:9]
	v_fmac_f64_e32 v[8:9], -0.5, v[34:35]
	v_add_f64 v[54:55], v[36:37], v[40:41]
	v_add_f64 v[40:41], v[4:5], v[24:25]
	;; [unrolled: 1-line block ×3, first 2 shown]
	v_add_f64 v[38:39], v[14:15], -v[26:27]
	v_add_f64 v[48:49], v[16:17], -v[20:21]
	v_add_f64 v[16:17], v[30:31], v[32:33]
	v_fma_f64 v[30:31], -0.5, v[46:47], v[10:11]
	v_fma_f64 v[36:37], s[6:7], v[42:43], v[8:9]
	v_fmac_f64_e32 v[8:9], s[12:13], v[42:43]
	v_fmac_f64_e32 v[10:11], -0.5, v[4:5]
	v_add_f64 v[12:13], v[12:13], -v[24:25]
	v_add_f64 v[50:51], v[14:15], -v[18:19]
	v_fma_f64 v[32:33], s[12:13], v[38:39], v[28:29]
	v_fmac_f64_e32 v[28:29], s[6:7], v[38:39]
	v_fmac_f64_e32 v[36:37], s[0:1], v[38:39]
	;; [unrolled: 1-line block ×3, first 2 shown]
	v_fma_f64 v[38:39], s[12:13], v[48:49], v[10:11]
	v_add_f64 v[4:5], v[18:19], -v[14:15]
	v_add_f64 v[14:15], v[22:23], -v[26:27]
	v_fmac_f64_e32 v[10:11], s[6:7], v[48:49]
	v_fmac_f64_e32 v[38:39], s[14:15], v[12:13]
	v_add_f64 v[4:5], v[4:5], v[14:15]
	v_fmac_f64_e32 v[10:11], s[0:1], v[12:13]
	v_fmac_f64_e32 v[38:39], s[4:5], v[4:5]
	;; [unrolled: 1-line block ×3, first 2 shown]
	v_mul_hi_u32 v4, v2, s18
	v_add_f64 v[52:53], v[26:27], -v[22:23]
	v_add_f64 v[34:35], v[44:45], v[18:19]
	v_mul_u32_u24_e32 v4, 5, v4
	v_add_f64 v[44:45], v[50:51], v[52:53]
	v_add_f64 v[20:21], v[34:35], v[22:23]
	v_fma_f64 v[34:35], s[6:7], v[12:13], v[30:31]
	v_fmac_f64_e32 v[30:31], s[12:13], v[12:13]
	v_sub_u32_e32 v50, v2, v4
	v_fmac_f64_e32 v[32:33], s[0:1], v[42:43]
	v_fmac_f64_e32 v[28:29], s[14:15], v[42:43]
	v_add_f64 v[42:43], v[20:21], v[26:27]
	v_fmac_f64_e32 v[34:35], s[14:15], v[48:49]
	v_fmac_f64_e32 v[8:9], s[4:5], v[54:55]
	;; [unrolled: 1-line block ×3, first 2 shown]
	v_lshlrev_b32_e32 v4, 6, v50
	v_fmac_f64_e32 v[32:33], s[4:5], v[16:17]
	v_fmac_f64_e32 v[28:29], s[4:5], v[16:17]
	v_fmac_f64_e32 v[36:37], s[4:5], v[54:55]
	v_fmac_f64_e32 v[34:35], s[4:5], v[44:45]
	v_fmac_f64_e32 v[30:31], s[4:5], v[44:45]
	ds_write_b128 v3, v[40:43]
	ds_write_b128 v3, v[32:35] offset:256
	ds_write_b128 v3, v[36:39] offset:512
	;; [unrolled: 1-line block ×4, first 2 shown]
	s_waitcnt lgkmcnt(0)
	s_barrier
	global_load_dwordx4 v[8:11], v4, s[2:3]
	global_load_dwordx4 v[12:15], v4, s[2:3] offset:16
	global_load_dwordx4 v[16:19], v4, s[2:3] offset:32
	;; [unrolled: 1-line block ×3, first 2 shown]
	v_lshlrev_b32_e32 v4, 10, v2
	v_sub_u32_e32 v51, v3, v4
	ds_read_b128 v[24:27], v51 offset:6400
	ds_read_b128 v[28:31], v51
	ds_read_b128 v[32:35], v51 offset:12800
	ds_read_b128 v[36:39], v51 offset:19200
	;; [unrolled: 1-line block ×3, first 2 shown]
	s_mov_b32 s18, 0x3333334
	v_mul_hi_u32 v3, v0, s18
	v_mul_u32_u24_e32 v3, 25, v3
	v_add_lshl_u32 v3, v3, v50, 8
	v_add3_u32 v3, 0, v3, v7
	s_mov_b32 s18, 0xa3d70a4
	s_waitcnt lgkmcnt(0)
	s_barrier
	v_mul_hi_u32_u24_e32 v0, 0xa3d70b, v0
	s_waitcnt vmcnt(3)
	v_mul_f64 v[4:5], v[26:27], v[10:11]
	s_waitcnt vmcnt(2)
	v_mul_f64 v[44:45], v[34:35], v[14:15]
	;; [unrolled: 2-line block ×3, first 2 shown]
	v_mul_f64 v[10:11], v[24:25], v[10:11]
	v_mul_f64 v[14:15], v[32:33], v[14:15]
	s_waitcnt vmcnt(0)
	v_mul_f64 v[48:49], v[42:43], v[22:23]
	v_mul_f64 v[22:23], v[40:41], v[22:23]
	v_fmac_f64_e32 v[4:5], v[24:25], v[8:9]
	v_fmac_f64_e32 v[44:45], v[32:33], v[12:13]
	;; [unrolled: 1-line block ×3, first 2 shown]
	v_mul_f64 v[18:19], v[36:37], v[18:19]
	v_fma_f64 v[24:25], v[26:27], v[8:9], -v[10:11]
	v_fma_f64 v[26:27], v[34:35], v[12:13], -v[14:15]
	v_fmac_f64_e32 v[48:49], v[40:41], v[20:21]
	v_fma_f64 v[34:35], v[42:43], v[20:21], -v[22:23]
	v_add_f64 v[8:9], v[28:29], v[4:5]
	v_add_f64 v[10:11], v[44:45], v[46:47]
	v_fma_f64 v[32:33], v[38:39], v[16:17], -v[18:19]
	v_add_f64 v[14:15], v[24:25], -v[34:35]
	v_add_f64 v[12:13], v[4:5], -v[44:45]
	;; [unrolled: 1-line block ×3, first 2 shown]
	v_add_f64 v[20:21], v[4:5], v[48:49]
	v_add_f64 v[40:41], v[8:9], v[44:45]
	v_fma_f64 v[8:9], -0.5, v[10:11], v[28:29]
	v_add_f64 v[18:19], v[26:27], -v[32:33]
	v_add_f64 v[22:23], v[44:45], -v[4:5]
	;; [unrolled: 1-line block ×3, first 2 shown]
	v_add_f64 v[38:39], v[30:31], v[24:25]
	v_add_f64 v[10:11], v[12:13], v[16:17]
	v_fmac_f64_e32 v[28:29], -0.5, v[20:21]
	v_fma_f64 v[12:13], s[12:13], v[14:15], v[8:9]
	v_fmac_f64_e32 v[8:9], s[6:7], v[14:15]
	v_add_f64 v[22:23], v[22:23], v[36:37]
	v_add_f64 v[36:37], v[38:39], v[26:27]
	v_fma_f64 v[16:17], s[6:7], v[18:19], v[28:29]
	v_fmac_f64_e32 v[28:29], s[12:13], v[18:19]
	v_fmac_f64_e32 v[12:13], s[0:1], v[18:19]
	;; [unrolled: 1-line block ×7, first 2 shown]
	v_add_f64 v[10:11], v[36:37], v[32:33]
	v_fmac_f64_e32 v[16:17], s[4:5], v[22:23]
	v_fmac_f64_e32 v[28:29], s[4:5], v[22:23]
	v_add_f64 v[22:23], v[10:11], v[34:35]
	v_add_f64 v[10:11], v[26:27], v[32:33]
	v_fma_f64 v[10:11], -0.5, v[10:11], v[30:31]
	v_add_f64 v[4:5], v[4:5], -v[48:49]
	v_fma_f64 v[14:15], s[6:7], v[4:5], v[10:11]
	v_add_f64 v[36:37], v[44:45], -v[46:47]
	v_add_f64 v[18:19], v[24:25], -v[26:27]
	;; [unrolled: 1-line block ×3, first 2 shown]
	v_fmac_f64_e32 v[10:11], s[12:13], v[4:5]
	v_fmac_f64_e32 v[14:15], s[14:15], v[36:37]
	v_add_f64 v[18:19], v[18:19], v[38:39]
	v_fmac_f64_e32 v[10:11], s[0:1], v[36:37]
	v_fmac_f64_e32 v[14:15], s[4:5], v[18:19]
	;; [unrolled: 1-line block ×3, first 2 shown]
	v_add_f64 v[18:19], v[24:25], v[34:35]
	v_fmac_f64_e32 v[30:31], -0.5, v[18:19]
	v_add_f64 v[20:21], v[40:41], v[46:47]
	v_fma_f64 v[18:19], s[12:13], v[36:37], v[30:31]
	v_add_f64 v[24:25], v[26:27], -v[24:25]
	v_add_f64 v[26:27], v[32:33], -v[34:35]
	v_fmac_f64_e32 v[30:31], s[6:7], v[36:37]
	v_add_f64 v[20:21], v[20:21], v[48:49]
	v_fmac_f64_e32 v[18:19], s[14:15], v[4:5]
	v_add_f64 v[24:25], v[24:25], v[26:27]
	v_fmac_f64_e32 v[30:31], s[0:1], v[4:5]
	v_fmac_f64_e32 v[18:19], s[4:5], v[24:25]
	;; [unrolled: 1-line block ×3, first 2 shown]
	ds_write_b128 v3, v[20:23]
	ds_write_b128 v3, v[12:15] offset:1280
	ds_write_b128 v3, v[16:19] offset:2560
	;; [unrolled: 1-line block ×4, first 2 shown]
	v_mul_hi_u32 v3, v2, s18
	v_mul_u32_u24_e32 v3, 25, v3
	v_sub_u32_e32 v48, v2, v3
	v_lshlrev_b32_e32 v2, 6, v48
	s_waitcnt lgkmcnt(0)
	s_barrier
	global_load_dwordx4 v[8:11], v2, s[2:3] offset:320
	global_load_dwordx4 v[12:15], v2, s[2:3] offset:336
	;; [unrolled: 1-line block ×4, first 2 shown]
	ds_read_b128 v[24:27], v51 offset:6400
	ds_read_b128 v[2:5], v51
	ds_read_b128 v[28:31], v51 offset:12800
	ds_read_b128 v[32:35], v51 offset:19200
	;; [unrolled: 1-line block ×3, first 2 shown]
	s_add_i32 s2, 0, 0x7d00
	s_waitcnt vmcnt(3) lgkmcnt(4)
	v_mul_f64 v[40:41], v[26:27], v[10:11]
	s_waitcnt vmcnt(2) lgkmcnt(2)
	v_mul_f64 v[42:43], v[30:31], v[14:15]
	;; [unrolled: 2-line block ×3, first 2 shown]
	v_mul_f64 v[10:11], v[24:25], v[10:11]
	v_mul_f64 v[14:15], v[28:29], v[14:15]
	;; [unrolled: 1-line block ×3, first 2 shown]
	s_waitcnt vmcnt(0) lgkmcnt(0)
	v_mul_f64 v[46:47], v[38:39], v[22:23]
	v_mul_f64 v[22:23], v[36:37], v[22:23]
	v_fmac_f64_e32 v[40:41], v[24:25], v[8:9]
	v_fmac_f64_e32 v[42:43], v[28:29], v[12:13]
	v_fmac_f64_e32 v[44:45], v[32:33], v[16:17]
	v_fma_f64 v[8:9], v[26:27], v[8:9], -v[10:11]
	v_fma_f64 v[14:15], v[30:31], v[12:13], -v[14:15]
	;; [unrolled: 1-line block ×3, first 2 shown]
	v_fmac_f64_e32 v[46:47], v[36:37], v[20:21]
	v_fma_f64 v[18:19], v[38:39], v[20:21], -v[22:23]
	v_add_f64 v[10:11], v[2:3], v[40:41]
	v_add_f64 v[12:13], v[42:43], v[44:45]
	v_add_f64 v[20:21], v[8:9], -v[18:19]
	v_add_f64 v[24:25], v[40:41], -v[42:43]
	;; [unrolled: 1-line block ×3, first 2 shown]
	v_add_f64 v[28:29], v[10:11], v[42:43]
	v_fma_f64 v[10:11], -0.5, v[12:13], v[2:3]
	v_add_f64 v[22:23], v[14:15], -v[16:17]
	v_add_f64 v[12:13], v[24:25], v[26:27]
	v_fma_f64 v[26:27], s[12:13], v[20:21], v[10:11]
	v_fmac_f64_e32 v[10:11], s[6:7], v[20:21]
	v_fmac_f64_e32 v[26:27], s[0:1], v[22:23]
	;; [unrolled: 1-line block ×5, first 2 shown]
	v_add_f64 v[12:13], v[40:41], v[46:47]
	v_fmac_f64_e32 v[2:3], -0.5, v[12:13]
	v_add_f64 v[24:25], v[28:29], v[44:45]
	v_fma_f64 v[28:29], s[6:7], v[22:23], v[2:3]
	v_add_f64 v[12:13], v[42:43], -v[40:41]
	v_add_f64 v[30:31], v[44:45], -v[46:47]
	v_fmac_f64_e32 v[2:3], s[12:13], v[22:23]
	v_fmac_f64_e32 v[28:29], s[0:1], v[20:21]
	v_add_f64 v[12:13], v[12:13], v[30:31]
	v_fmac_f64_e32 v[2:3], s[14:15], v[20:21]
	v_fmac_f64_e32 v[28:29], s[4:5], v[12:13]
	;; [unrolled: 1-line block ×3, first 2 shown]
	v_add_f64 v[12:13], v[4:5], v[8:9]
	v_add_f64 v[12:13], v[12:13], v[14:15]
	;; [unrolled: 1-line block ×5, first 2 shown]
	v_fma_f64 v[12:13], -0.5, v[12:13], v[4:5]
	v_add_f64 v[30:31], v[40:41], -v[46:47]
	v_fma_f64 v[32:33], s[6:7], v[30:31], v[12:13]
	v_add_f64 v[34:35], v[42:43], -v[44:45]
	v_add_f64 v[20:21], v[8:9], -v[14:15]
	;; [unrolled: 1-line block ×3, first 2 shown]
	v_fmac_f64_e32 v[12:13], s[12:13], v[30:31]
	v_fmac_f64_e32 v[32:33], s[14:15], v[34:35]
	v_add_f64 v[20:21], v[20:21], v[36:37]
	v_fmac_f64_e32 v[12:13], s[0:1], v[34:35]
	v_fmac_f64_e32 v[32:33], s[4:5], v[20:21]
	;; [unrolled: 1-line block ×3, first 2 shown]
	v_add_f64 v[20:21], v[8:9], v[18:19]
	v_add_f64 v[8:9], v[14:15], -v[8:9]
	v_add_f64 v[14:15], v[16:17], -v[18:19]
	v_mul_lo_u32 v38, v48, v6
	v_add_f64 v[8:9], v[8:9], v[14:15]
	v_lshrrev_b32_e32 v14, 2, v38
	v_and_b32_e32 v7, 63, v38
	v_and_b32_e32 v14, 0x3f0, v14
	v_lshl_add_u32 v7, v7, 4, 0
	v_add_u32_e32 v18, s2, v14
	v_fmac_f64_e32 v[4:5], -0.5, v[20:21]
	ds_read_b128 v[14:17], v7 offset:32000
	ds_read_b128 v[18:21], v18 offset:1024
	v_fma_f64 v[36:37], s[12:13], v[34:35], v[4:5]
	v_fmac_f64_e32 v[4:5], s[6:7], v[34:35]
	v_lshrrev_b32_e32 v7, 8, v38
	v_fmac_f64_e32 v[36:37], s[14:15], v[30:31]
	v_fmac_f64_e32 v[4:5], s[0:1], v[30:31]
	v_and_b32_e32 v7, 0x3f0, v7
	v_fmac_f64_e32 v[36:37], s[4:5], v[8:9]
	v_fmac_f64_e32 v[4:5], s[4:5], v[8:9]
	s_waitcnt lgkmcnt(0)
	v_mul_f64 v[8:9], v[16:17], v[20:21]
	v_add_u32_e32 v7, s2, v7
	v_fma_f64 v[30:31], v[14:15], v[18:19], -v[8:9]
	v_mul_lo_u32 v39, v6, 25
	ds_read_b128 v[6:9], v7 offset:2048
	v_add_u32_e32 v38, v38, v39
	v_mul_f64 v[20:21], v[14:15], v[20:21]
	v_and_b32_e32 v14, 63, v38
	v_fmac_f64_e32 v[20:21], v[16:17], v[18:19]
	v_lshl_add_u32 v14, v14, 4, 0
	ds_read_b128 v[14:17], v14 offset:32000
	s_waitcnt lgkmcnt(1)
	v_mul_f64 v[18:19], v[20:21], v[8:9]
	v_mul_f64 v[8:9], v[30:31], v[8:9]
	v_add_f64 v[24:25], v[24:25], v[46:47]
	v_fmac_f64_e32 v[8:9], v[6:7], v[20:21]
	v_fma_f64 v[18:19], v[6:7], v[30:31], -v[18:19]
	v_mul_f64 v[6:7], v[22:23], v[8:9]
	v_mul_f64 v[8:9], v[24:25], v[8:9]
	v_fmac_f64_e32 v[6:7], v[24:25], v[18:19]
	v_fma_f64 v[8:9], v[22:23], v[18:19], -v[8:9]
	v_lshrrev_b32_e32 v18, 2, v38
	v_and_b32_e32 v18, 0x3f0, v18
	v_add_u32_e32 v18, s2, v18
	ds_read_b128 v[18:21], v18 offset:1024
	v_lshrrev_b32_e32 v22, 8, v38
	v_and_b32_e32 v22, 0x3f0, v22
	v_add_u32_e32 v22, s2, v22
	ds_read_b128 v[22:25], v22 offset:2048
	s_waitcnt lgkmcnt(1)
	v_mul_f64 v[30:31], v[16:17], v[20:21]
	v_fma_f64 v[30:31], v[14:15], v[18:19], -v[30:31]
	v_mul_f64 v[14:15], v[14:15], v[20:21]
	v_fmac_f64_e32 v[14:15], v[16:17], v[18:19]
	s_waitcnt lgkmcnt(0)
	v_mul_f64 v[16:17], v[14:15], v[24:25]
	v_mul_f64 v[24:25], v[30:31], v[24:25]
	v_add_u32_e32 v38, v38, v39
	v_fmac_f64_e32 v[24:25], v[22:23], v[14:15]
	v_lshrrev_b32_e32 v15, 2, v38
	v_and_b32_e32 v14, 63, v38
	v_and_b32_e32 v15, 0x3f0, v15
	v_lshl_add_u32 v14, v14, 4, 0
	v_add_u32_e32 v18, s2, v15
	v_fma_f64 v[34:35], v[22:23], v[30:31], -v[16:17]
	ds_read_b128 v[14:17], v14 offset:32000
	ds_read_b128 v[18:21], v18 offset:1024
	v_mul_f64 v[22:23], v[32:33], v[24:25]
	v_fmac_f64_e32 v[22:23], v[26:27], v[34:35]
	v_mul_f64 v[24:25], v[26:27], v[24:25]
	v_fma_f64 v[24:25], v[32:33], v[34:35], -v[24:25]
	s_waitcnt lgkmcnt(0)
	v_mul_f64 v[26:27], v[16:17], v[20:21]
	v_fma_f64 v[26:27], v[14:15], v[18:19], -v[26:27]
	v_mul_f64 v[30:31], v[14:15], v[20:21]
	v_lshrrev_b32_e32 v14, 8, v38
	v_and_b32_e32 v14, 0x3f0, v14
	v_add_u32_e32 v14, s2, v14
	v_fmac_f64_e32 v[30:31], v[16:17], v[18:19]
	ds_read_b128 v[14:17], v14 offset:2048
	v_add_u32_e32 v38, v38, v39
	v_and_b32_e32 v18, 63, v38
	v_lshl_add_u32 v18, v18, 4, 0
	ds_read_b128 v[18:21], v18 offset:32000
	s_waitcnt lgkmcnt(1)
	v_mul_f64 v[32:33], v[30:31], v[16:17]
	v_fma_f64 v[32:33], v[14:15], v[26:27], -v[32:33]
	v_mul_f64 v[16:17], v[26:27], v[16:17]
	v_lshrrev_b32_e32 v26, 2, v38
	v_fmac_f64_e32 v[16:17], v[14:15], v[30:31]
	v_and_b32_e32 v26, 0x3f0, v26
	v_mul_f64 v[14:15], v[36:37], v[16:17]
	v_add_u32_e32 v26, s2, v26
	v_lshrrev_b32_e32 v30, 8, v38
	v_fmac_f64_e32 v[14:15], v[28:29], v[32:33]
	v_mul_f64 v[16:17], v[28:29], v[16:17]
	ds_read_b128 v[26:29], v26 offset:1024
	v_and_b32_e32 v30, 0x3f0, v30
	v_add_u32_e32 v30, s2, v30
	v_fma_f64 v[16:17], v[36:37], v[32:33], -v[16:17]
	ds_read_b128 v[30:33], v30 offset:2048
	s_waitcnt lgkmcnt(1)
	v_mul_f64 v[34:35], v[20:21], v[28:29]
	v_fma_f64 v[34:35], v[18:19], v[26:27], -v[34:35]
	v_mul_f64 v[18:19], v[18:19], v[28:29]
	v_fmac_f64_e32 v[18:19], v[20:21], v[26:27]
	s_waitcnt lgkmcnt(0)
	v_mul_f64 v[26:27], v[34:35], v[32:33]
	v_mul_f64 v[20:21], v[18:19], v[32:33]
	v_fmac_f64_e32 v[26:27], v[30:31], v[18:19]
	v_fma_f64 v[20:21], v[30:31], v[34:35], -v[20:21]
	v_mul_f64 v[18:19], v[4:5], v[26:27]
	v_fmac_f64_e32 v[18:19], v[2:3], v[20:21]
	v_mul_f64 v[2:3], v[2:3], v[26:27]
	v_add_u32_e32 v30, v38, v39
	v_fma_f64 v[20:21], v[4:5], v[20:21], -v[2:3]
	v_lshrrev_b32_e32 v3, 2, v30
	v_and_b32_e32 v2, 63, v30
	v_and_b32_e32 v3, 0x3f0, v3
	v_lshl_add_u32 v2, v2, 4, 0
	v_add_u32_e32 v26, s2, v3
	v_lshrrev_b32_e32 v30, 8, v30
	ds_read_b128 v[2:5], v2 offset:32000
	ds_read_b128 v[26:29], v26 offset:1024
	v_and_b32_e32 v30, 0x3f0, v30
	v_add_u32_e32 v30, s2, v30
	ds_read_b128 v[30:33], v30 offset:2048
	s_movk_i32 s0, 0x7d
	s_waitcnt lgkmcnt(1)
	v_mul_f64 v[34:35], v[4:5], v[28:29]
	v_fma_f64 v[34:35], v[2:3], v[26:27], -v[34:35]
	v_mul_f64 v[2:3], v[2:3], v[28:29]
	v_fmac_f64_e32 v[2:3], v[4:5], v[26:27]
	s_waitcnt lgkmcnt(0)
	v_mul_f64 v[26:27], v[34:35], v[32:33]
	v_mul_f64 v[4:5], v[2:3], v[32:33]
	v_fmac_f64_e32 v[26:27], v[30:31], v[2:3]
	v_fma_f64 v[4:5], v[30:31], v[34:35], -v[4:5]
	v_mul_f64 v[2:3], v[12:13], v[26:27]
	v_fmac_f64_e32 v[2:3], v[10:11], v[4:5]
	v_mul_f64 v[10:11], v[10:11], v[26:27]
	v_mad_u32_u24 v0, v0, s0, v48
	v_fma_f64 v[4:5], v[12:13], v[4:5], -v[10:11]
	v_mul_lo_u32 v10, s16, v0
	v_add_lshl_u32 v10, v1, v10, 4
	v_cndmask_b32_e32 v10, -1, v10, vcc
	buffer_store_dwordx4 v[6:9], v10, s[8:11], s17 offen
	v_add_u32_e32 v6, 25, v0
	v_mul_lo_u32 v6, s16, v6
	v_add_lshl_u32 v6, v1, v6, 4
	v_cndmask_b32_e32 v6, -1, v6, vcc
	buffer_store_dwordx4 v[22:25], v6, s[8:11], s17 offen
	v_add_u32_e32 v6, 50, v0
	;; [unrolled: 5-line block ×3, first 2 shown]
	v_add_u32_e32 v0, 0x64, v0
	v_mul_lo_u32 v6, s16, v6
	v_mul_lo_u32 v0, s16, v0
	v_add_lshl_u32 v6, v1, v6, 4
	v_add_lshl_u32 v0, v1, v0, 4
	v_cndmask_b32_e32 v6, -1, v6, vcc
	v_cndmask_b32_e32 v0, -1, v0, vcc
	buffer_store_dwordx4 v[18:21], v6, s[8:11], s17 offen
	buffer_store_dwordx4 v[2:5], v0, s[8:11], s17 offen
	s_endpgm
	.section	.rodata,"a",@progbits
	.p2align	6, 0x0
	.amdhsa_kernel fft_rtc_back_len125_factors_5_5_5_wgs_400_tpt_25_dp_ip_CI_sbcc_twdbase6_3step_dirReg_intrinsicReadWrite
		.amdhsa_group_segment_fixed_size 0
		.amdhsa_private_segment_fixed_size 0
		.amdhsa_kernarg_size 96
		.amdhsa_user_sgpr_count 6
		.amdhsa_user_sgpr_private_segment_buffer 1
		.amdhsa_user_sgpr_dispatch_ptr 0
		.amdhsa_user_sgpr_queue_ptr 0
		.amdhsa_user_sgpr_kernarg_segment_ptr 1
		.amdhsa_user_sgpr_dispatch_id 0
		.amdhsa_user_sgpr_flat_scratch_init 0
		.amdhsa_user_sgpr_kernarg_preload_length 0
		.amdhsa_user_sgpr_kernarg_preload_offset 0
		.amdhsa_user_sgpr_private_segment_size 0
		.amdhsa_uses_dynamic_stack 0
		.amdhsa_system_sgpr_private_segment_wavefront_offset 0
		.amdhsa_system_sgpr_workgroup_id_x 1
		.amdhsa_system_sgpr_workgroup_id_y 0
		.amdhsa_system_sgpr_workgroup_id_z 0
		.amdhsa_system_sgpr_workgroup_info 0
		.amdhsa_system_vgpr_workitem_id 0
		.amdhsa_next_free_vgpr 57
		.amdhsa_next_free_sgpr 39
		.amdhsa_accum_offset 60
		.amdhsa_reserve_vcc 1
		.amdhsa_reserve_flat_scratch 0
		.amdhsa_float_round_mode_32 0
		.amdhsa_float_round_mode_16_64 0
		.amdhsa_float_denorm_mode_32 3
		.amdhsa_float_denorm_mode_16_64 3
		.amdhsa_dx10_clamp 1
		.amdhsa_ieee_mode 1
		.amdhsa_fp16_overflow 0
		.amdhsa_tg_split 0
		.amdhsa_exception_fp_ieee_invalid_op 0
		.amdhsa_exception_fp_denorm_src 0
		.amdhsa_exception_fp_ieee_div_zero 0
		.amdhsa_exception_fp_ieee_overflow 0
		.amdhsa_exception_fp_ieee_underflow 0
		.amdhsa_exception_fp_ieee_inexact 0
		.amdhsa_exception_int_div_zero 0
	.end_amdhsa_kernel
	.text
.Lfunc_end0:
	.size	fft_rtc_back_len125_factors_5_5_5_wgs_400_tpt_25_dp_ip_CI_sbcc_twdbase6_3step_dirReg_intrinsicReadWrite, .Lfunc_end0-fft_rtc_back_len125_factors_5_5_5_wgs_400_tpt_25_dp_ip_CI_sbcc_twdbase6_3step_dirReg_intrinsicReadWrite
                                        ; -- End function
	.section	.AMDGPU.csdata,"",@progbits
; Kernel info:
; codeLenInByte = 4316
; NumSgprs: 43
; NumVgprs: 57
; NumAgprs: 0
; TotalNumVgprs: 57
; ScratchSize: 0
; MemoryBound: 0
; FloatMode: 240
; IeeeMode: 1
; LDSByteSize: 0 bytes/workgroup (compile time only)
; SGPRBlocks: 5
; VGPRBlocks: 7
; NumSGPRsForWavesPerEU: 43
; NumVGPRsForWavesPerEU: 57
; AccumOffset: 60
; Occupancy: 7
; WaveLimiterHint : 0
; COMPUTE_PGM_RSRC2:SCRATCH_EN: 0
; COMPUTE_PGM_RSRC2:USER_SGPR: 6
; COMPUTE_PGM_RSRC2:TRAP_HANDLER: 0
; COMPUTE_PGM_RSRC2:TGID_X_EN: 1
; COMPUTE_PGM_RSRC2:TGID_Y_EN: 0
; COMPUTE_PGM_RSRC2:TGID_Z_EN: 0
; COMPUTE_PGM_RSRC2:TIDIG_COMP_CNT: 0
; COMPUTE_PGM_RSRC3_GFX90A:ACCUM_OFFSET: 14
; COMPUTE_PGM_RSRC3_GFX90A:TG_SPLIT: 0
	.text
	.p2alignl 6, 3212836864
	.fill 256, 4, 3212836864
	.type	__hip_cuid_b93250af040fb836,@object ; @__hip_cuid_b93250af040fb836
	.section	.bss,"aw",@nobits
	.globl	__hip_cuid_b93250af040fb836
__hip_cuid_b93250af040fb836:
	.byte	0                               ; 0x0
	.size	__hip_cuid_b93250af040fb836, 1

	.ident	"AMD clang version 19.0.0git (https://github.com/RadeonOpenCompute/llvm-project roc-6.4.0 25133 c7fe45cf4b819c5991fe208aaa96edf142730f1d)"
	.section	".note.GNU-stack","",@progbits
	.addrsig
	.addrsig_sym __hip_cuid_b93250af040fb836
	.amdgpu_metadata
---
amdhsa.kernels:
  - .agpr_count:     0
    .args:
      - .actual_access:  read_only
        .address_space:  global
        .offset:         0
        .size:           8
        .value_kind:     global_buffer
      - .address_space:  global
        .offset:         8
        .size:           8
        .value_kind:     global_buffer
      - .offset:         16
        .size:           8
        .value_kind:     by_value
      - .actual_access:  read_only
        .address_space:  global
        .offset:         24
        .size:           8
        .value_kind:     global_buffer
      - .actual_access:  read_only
        .address_space:  global
        .offset:         32
        .size:           8
        .value_kind:     global_buffer
      - .offset:         40
        .size:           8
        .value_kind:     by_value
      - .actual_access:  read_only
        .address_space:  global
        .offset:         48
        .size:           8
        .value_kind:     global_buffer
      - .actual_access:  read_only
        .address_space:  global
        .offset:         56
        .size:           8
        .value_kind:     global_buffer
      - .offset:         64
        .size:           4
        .value_kind:     by_value
      - .actual_access:  read_only
        .address_space:  global
        .offset:         72
        .size:           8
        .value_kind:     global_buffer
      - .actual_access:  read_only
        .address_space:  global
        .offset:         80
        .size:           8
        .value_kind:     global_buffer
      - .address_space:  global
        .offset:         88
        .size:           8
        .value_kind:     global_buffer
    .group_segment_fixed_size: 0
    .kernarg_segment_align: 8
    .kernarg_segment_size: 96
    .language:       OpenCL C
    .language_version:
      - 2
      - 0
    .max_flat_workgroup_size: 400
    .name:           fft_rtc_back_len125_factors_5_5_5_wgs_400_tpt_25_dp_ip_CI_sbcc_twdbase6_3step_dirReg_intrinsicReadWrite
    .private_segment_fixed_size: 0
    .sgpr_count:     43
    .sgpr_spill_count: 0
    .symbol:         fft_rtc_back_len125_factors_5_5_5_wgs_400_tpt_25_dp_ip_CI_sbcc_twdbase6_3step_dirReg_intrinsicReadWrite.kd
    .uniform_work_group_size: 1
    .uses_dynamic_stack: false
    .vgpr_count:     57
    .vgpr_spill_count: 0
    .wavefront_size: 64
amdhsa.target:   amdgcn-amd-amdhsa--gfx90a
amdhsa.version:
  - 1
  - 2
...

	.end_amdgpu_metadata
